;; amdgpu-corpus repo=ROCm/rocFFT kind=compiled arch=gfx1030 opt=O3
	.text
	.amdgcn_target "amdgcn-amd-amdhsa--gfx1030"
	.amdhsa_code_object_version 6
	.protected	bluestein_single_back_len350_dim1_sp_op_CI_CI ; -- Begin function bluestein_single_back_len350_dim1_sp_op_CI_CI
	.globl	bluestein_single_back_len350_dim1_sp_op_CI_CI
	.p2align	8
	.type	bluestein_single_back_len350_dim1_sp_op_CI_CI,@function
bluestein_single_back_len350_dim1_sp_op_CI_CI: ; @bluestein_single_back_len350_dim1_sp_op_CI_CI
; %bb.0:
	s_load_dwordx4 s[12:15], s[4:5], 0x28
	v_mul_u32_u24_e32 v1, 0x51f, v0
	v_mov_b32_e32 v53, 0
	s_mov_b32 s0, exec_lo
	v_lshrrev_b32_e32 v1, 16, v1
	v_add_nc_u32_e32 v52, s6, v1
	s_waitcnt lgkmcnt(0)
	v_cmpx_gt_u64_e64 s[12:13], v[52:53]
	s_cbranch_execz .LBB0_23
; %bb.1:
	s_load_dwordx4 s[8:11], s[4:5], 0x18
	v_mul_lo_u16 v1, v1, 50
	v_sub_nc_u16 v16, v0, v1
	v_and_b32_e32 v66, 0xffff, v16
	v_lshlrev_b32_e32 v65, 3, v66
	s_waitcnt lgkmcnt(0)
	s_load_dwordx4 s[0:3], s[8:9], 0x0
	s_load_dwordx2 s[8:9], s[4:5], 0x0
	s_waitcnt lgkmcnt(0)
	s_clause 0x2
	global_load_dwordx2 v[53:54], v65, s[8:9]
	global_load_dwordx2 v[57:58], v65, s[8:9] offset:560
	global_load_dwordx2 v[55:56], v65, s[8:9] offset:1120
	v_mad_u64_u32 v[0:1], null, s2, v52, 0
	v_mad_u64_u32 v[2:3], null, s0, v66, 0
	v_add_co_u32 v48, s2, s8, v65
	s_mul_hi_u32 s6, s0, 0x46
	v_add_co_ci_u32_e64 v49, null, s9, 0, s2
	s_mul_i32 s2, s0, 0x46
	v_mad_u64_u32 v[4:5], null, s3, v52, v[1:2]
	s_mul_i32 s3, s1, 0x46
	s_add_i32 s3, s6, s3
	s_lshl_b64 s[6:7], s[2:3], 3
	s_load_dwordx2 s[2:3], s[4:5], 0x38
	v_mad_u64_u32 v[5:6], null, s1, v66, v[3:4]
	v_mov_b32_e32 v1, v4
	v_lshlrev_b64 v[0:1], 3, v[0:1]
	v_mov_b32_e32 v3, v5
	v_lshlrev_b64 v[2:3], 3, v[2:3]
	v_add_co_u32 v0, vcc_lo, s14, v0
	v_add_co_ci_u32_e32 v1, vcc_lo, s15, v1, vcc_lo
	v_add_co_u32 v0, vcc_lo, v0, v2
	v_add_co_ci_u32_e32 v1, vcc_lo, v1, v3, vcc_lo
	;; [unrolled: 2-line block ×5, first 2 shown]
	s_clause 0x1
	global_load_dwordx2 v[6:7], v[0:1], off
	global_load_dwordx2 v[2:3], v[2:3], off
	v_add_co_u32 v8, vcc_lo, v4, s6
	v_add_co_ci_u32_e32 v9, vcc_lo, s7, v5, vcc_lo
	global_load_dwordx2 v[4:5], v[4:5], off
	v_add_co_u32 v0, vcc_lo, v8, s6
	v_add_co_ci_u32_e32 v1, vcc_lo, s7, v9, vcc_lo
	global_load_dwordx2 v[59:60], v65, s[8:9] offset:1680
	global_load_dwordx2 v[8:9], v[8:9], off
	global_load_dwordx2 v[61:62], v[50:51], off offset:192
	global_load_dwordx2 v[10:11], v[0:1], off
	s_load_dwordx4 s[8:11], s[10:11], 0x0
	v_cmp_gt_u16_e32 vcc_lo, 20, v16
	s_waitcnt vmcnt(6)
	v_mul_f32_e32 v12, v7, v54
	s_waitcnt vmcnt(5)
	v_mul_f32_e32 v14, v3, v58
	v_mul_f32_e32 v15, v2, v58
	v_mul_f32_e32 v13, v6, v54
	v_fmac_f32_e32 v12, v6, v53
	s_waitcnt vmcnt(4)
	v_mul_f32_e32 v6, v5, v56
	v_fmac_f32_e32 v14, v2, v57
	v_fma_f32 v15, v3, v57, -v15
	v_mul_f32_e32 v3, v4, v56
	s_waitcnt vmcnt(2)
	v_mul_f32_e32 v2, v9, v60
	v_mul_f32_e32 v17, v8, v60
	v_fmac_f32_e32 v6, v4, v55
	s_waitcnt vmcnt(0)
	v_mul_f32_e32 v4, v11, v62
	v_mul_f32_e32 v18, v10, v62
	v_fma_f32 v13, v7, v53, -v13
	v_fma_f32 v7, v5, v55, -v3
	v_fmac_f32_e32 v2, v8, v59
	v_fma_f32 v3, v9, v59, -v17
	v_fmac_f32_e32 v4, v10, v61
	v_fma_f32 v5, v11, v61, -v18
	ds_write2_b64 v65, v[12:13], v[14:15] offset1:70
	ds_write2_b64 v65, v[6:7], v[2:3] offset0:140 offset1:210
	ds_write_b64 v65, v[4:5] offset:2240
	s_and_saveexec_b32 s12, vcc_lo
	s_cbranch_execz .LBB0_3
; %bb.2:
	v_mad_u64_u32 v[0:1], null, 0xfffff8d0, s0, v[0:1]
	s_mulk_i32 s1, 0xf8d0
	s_clause 0x2
	global_load_dwordx2 v[2:3], v[48:49], off offset:400
	global_load_dwordx2 v[4:5], v[48:49], off offset:960
	;; [unrolled: 1-line block ×3, first 2 shown]
	s_sub_i32 s0, s1, s0
	v_add_nc_u32_e32 v22, 0x400, v65
	v_add_nc_u32_e32 v1, s0, v1
	v_add_co_u32 v8, s0, v0, s6
	v_add_co_ci_u32_e64 v9, s0, s7, v1, s0
	v_add_co_u32 v10, s0, v8, s6
	global_load_dwordx2 v[0:1], v[0:1], off
	v_add_co_ci_u32_e64 v11, s0, s7, v9, s0
	v_add_co_u32 v12, s0, v10, s6
	global_load_dwordx2 v[8:9], v[8:9], off
	;; [unrolled: 3-line block ×3, first 2 shown]
	v_add_co_ci_u32_e64 v15, s0, s7, v13, s0
	global_load_dwordx2 v[12:13], v[12:13], off
	s_clause 0x1
	global_load_dwordx2 v[16:17], v[50:51], off offset:32
	global_load_dwordx2 v[18:19], v[50:51], off offset:592
	global_load_dwordx2 v[14:15], v[14:15], off
	s_waitcnt vmcnt(6)
	v_mul_f32_e32 v20, v1, v3
	v_mul_f32_e32 v21, v0, v3
	s_waitcnt vmcnt(5)
	v_mul_f32_e32 v3, v9, v5
	v_mul_f32_e32 v5, v8, v5
	v_fmac_f32_e32 v20, v0, v2
	v_fma_f32 v21, v1, v2, -v21
	s_waitcnt vmcnt(4)
	v_mul_f32_e32 v0, v11, v7
	v_fmac_f32_e32 v3, v8, v4
	v_fma_f32 v4, v9, v4, -v5
	v_mul_f32_e32 v1, v10, v7
	s_waitcnt vmcnt(2)
	v_mul_f32_e32 v5, v13, v17
	v_mul_f32_e32 v2, v12, v17
	s_waitcnt vmcnt(0)
	v_mul_f32_e32 v7, v15, v19
	v_mul_f32_e32 v8, v14, v19
	v_fmac_f32_e32 v0, v10, v6
	v_fma_f32 v1, v11, v6, -v1
	v_fmac_f32_e32 v5, v12, v16
	v_fma_f32 v6, v13, v16, -v2
	;; [unrolled: 2-line block ×3, first 2 shown]
	ds_write2_b64 v65, v[20:21], v[3:4] offset0:50 offset1:120
	ds_write2_b64 v22, v[0:1], v[5:6] offset0:62 offset1:132
	ds_write_b64 v65, v[7:8] offset:2640
.LBB0_3:
	s_or_b32 exec_lo, exec_lo, s12
	s_waitcnt lgkmcnt(0)
	s_barrier
	buffer_gl0_inv
	ds_read2_b64 v[8:11], v65 offset1:70
	ds_read2_b64 v[12:15], v65 offset0:140 offset1:210
	ds_read_b64 v[18:19], v65 offset:2240
	s_load_dwordx2 s[4:5], s[4:5], 0x8
                                        ; implicit-def: $vgpr4
                                        ; implicit-def: $vgpr0
                                        ; implicit-def: $vgpr16
	s_and_saveexec_b32 s0, vcc_lo
	s_cbranch_execz .LBB0_5
; %bb.4:
	v_add_nc_u32_e32 v0, 0x400, v65
	ds_read2_b64 v[4:7], v65 offset0:50 offset1:120
	ds_read2_b64 v[0:3], v0 offset0:62 offset1:132
	ds_read_b64 v[16:17], v65 offset:2640
.LBB0_5:
	s_or_b32 exec_lo, exec_lo, s0
	s_waitcnt lgkmcnt(0)
	v_add_f32_e32 v20, v8, v10
	v_add_f32_e32 v21, v12, v14
	v_sub_f32_e32 v25, v11, v19
	v_add_f32_e32 v24, v10, v18
	v_sub_f32_e32 v23, v13, v15
	v_add_f32_e32 v22, v20, v12
	v_fma_f32 v20, -0.5, v21, v8
	v_sub_f32_e32 v21, v10, v12
	v_sub_f32_e32 v27, v18, v14
	v_fma_f32 v24, -0.5, v24, v8
	v_add_f32_e32 v26, v22, v14
	v_fmamk_f32 v22, v25, 0x3f737871, v20
	v_fmac_f32_e32 v20, 0xbf737871, v25
	v_add_f32_e32 v8, v21, v27
	v_fmamk_f32 v30, v23, 0xbf737871, v24
	v_add_f32_e32 v29, v9, v11
	v_fmac_f32_e32 v22, 0x3f167918, v23
	v_fmac_f32_e32 v20, 0xbf167918, v23
	;; [unrolled: 1-line block ×3, first 2 shown]
	v_sub_f32_e32 v21, v12, v10
	v_sub_f32_e32 v27, v14, v18
	v_fmac_f32_e32 v22, 0x3e9e377a, v8
	v_add_f32_e32 v28, v13, v15
	v_fmac_f32_e32 v30, 0x3f167918, v25
	v_fmac_f32_e32 v20, 0x3e9e377a, v8
	v_add_f32_e32 v8, v29, v13
	v_fmac_f32_e32 v24, 0xbf167918, v25
	v_add_f32_e32 v25, v11, v19
	v_add_f32_e32 v26, v26, v18
	;; [unrolled: 1-line block ×3, first 2 shown]
	v_fma_f32 v21, -0.5, v28, v9
	v_sub_f32_e32 v18, v10, v18
	v_sub_f32_e32 v12, v12, v14
	v_add_f32_e32 v8, v8, v15
	v_fma_f32 v25, -0.5, v25, v9
	v_fmac_f32_e32 v30, 0x3e9e377a, v27
	v_fmamk_f32 v23, v18, 0xbf737871, v21
	v_sub_f32_e32 v10, v11, v13
	v_sub_f32_e32 v14, v19, v15
	v_fmac_f32_e32 v21, 0x3f737871, v18
	v_fmac_f32_e32 v24, 0x3e9e377a, v27
	v_add_f32_e32 v27, v8, v19
	v_fmamk_f32 v31, v12, 0x3f737871, v25
	v_sub_f32_e32 v8, v13, v11
	v_sub_f32_e32 v9, v15, v19
	v_add_f32_e32 v11, v0, v2
	v_fmac_f32_e32 v25, 0xbf737871, v12
	v_fmac_f32_e32 v23, 0xbf167918, v12
	v_add_f32_e32 v10, v10, v14
	v_fmac_f32_e32 v21, 0x3f167918, v12
	v_fmac_f32_e32 v31, 0xbf167918, v18
	v_add_f32_e32 v13, v6, v16
	v_add_f32_e32 v14, v8, v9
	v_fma_f32 v8, -0.5, v11, v4
	v_sub_f32_e32 v11, v6, v0
	v_sub_f32_e32 v12, v16, v2
	v_fmac_f32_e32 v25, 0x3f167918, v18
	v_fma_f32 v32, -0.5, v13, v4
	v_sub_f32_e32 v13, v0, v6
	v_sub_f32_e32 v15, v2, v16
	v_add_f32_e32 v11, v11, v12
	v_fmac_f32_e32 v31, 0x3e9e377a, v14
	v_fmac_f32_e32 v25, 0x3e9e377a, v14
	v_add_f32_e32 v12, v1, v3
	v_add_f32_e32 v14, v7, v17
	v_fmac_f32_e32 v23, 0x3e9e377a, v10
	v_fmac_f32_e32 v21, 0x3e9e377a, v10
	v_sub_f32_e32 v9, v7, v17
	v_sub_f32_e32 v10, v1, v3
	v_add_f32_e32 v18, v13, v15
	v_fma_f32 v12, -0.5, v12, v5
	v_sub_f32_e32 v15, v6, v16
	v_sub_f32_e32 v13, v0, v2
	v_fma_f32 v33, -0.5, v14, v5
	v_fmamk_f32 v28, v9, 0xbf737871, v8
	v_fmamk_f32 v34, v10, 0xbf737871, v32
	v_fmac_f32_e32 v32, 0x3f737871, v10
	v_sub_f32_e32 v14, v7, v1
	v_sub_f32_e32 v19, v17, v3
	v_fmamk_f32 v29, v15, 0x3f737871, v12
	v_fmamk_f32 v35, v13, 0x3f737871, v33
	v_sub_f32_e32 v37, v1, v7
	v_sub_f32_e32 v38, v3, v17
	v_fmac_f32_e32 v33, 0xbf737871, v13
	v_add_co_u32 v36, null, v66, 50
	v_fmac_f32_e32 v28, 0xbf167918, v10
	v_fmac_f32_e32 v34, 0x3f167918, v9
	;; [unrolled: 1-line block ×3, first 2 shown]
	v_add_f32_e32 v14, v14, v19
	v_fmac_f32_e32 v29, 0x3f167918, v13
	v_fmac_f32_e32 v35, 0xbf167918, v15
	v_add_f32_e32 v19, v37, v38
	v_fmac_f32_e32 v33, 0x3f167918, v15
	v_mul_lo_u16 v37, v66, 5
	v_mov_b32_e32 v38, 3
	v_fmac_f32_e32 v28, 0x3e9e377a, v11
	v_fmac_f32_e32 v34, 0x3e9e377a, v18
	;; [unrolled: 1-line block ×6, first 2 shown]
	v_lshlrev_b32_sdwa v68, v38, v37 dst_sel:DWORD dst_unused:UNUSED_PAD src0_sel:DWORD src1_sel:WORD_0
	v_mul_u32_u24_e32 v67, 5, v36
	s_barrier
	buffer_gl0_inv
	ds_write2_b64 v68, v[26:27], v[22:23] offset1:1
	ds_write2_b64 v68, v[30:31], v[24:25] offset0:2 offset1:3
	ds_write_b64 v68, v[20:21] offset:32
	s_and_saveexec_b32 s0, vcc_lo
	s_cbranch_execz .LBB0_7
; %bb.6:
	v_mul_f32_e32 v9, 0x3f737871, v9
	v_mul_f32_e32 v15, 0x3f737871, v15
	v_add_f32_e32 v5, v5, v7
	v_add_f32_e32 v4, v4, v6
	v_mul_f32_e32 v10, 0x3f167918, v10
	v_mul_f32_e32 v7, 0x3e9e377a, v11
	;; [unrolled: 1-line block ×3, first 2 shown]
	v_sub_f32_e32 v11, v12, v15
	v_add_f32_e32 v1, v5, v1
	v_add_f32_e32 v5, v8, v9
	;; [unrolled: 1-line block ×3, first 2 shown]
	v_mul_f32_e32 v4, 0x3e9e377a, v14
	v_sub_f32_e32 v6, v11, v6
	v_add_f32_e32 v3, v1, v3
	v_add_f32_e32 v5, v10, v5
	;; [unrolled: 1-line block ×7, first 2 shown]
	v_lshlrev_b32_e32 v4, 3, v67
	ds_write2_b64 v4, v[2:3], v[0:1] offset1:1
	ds_write2_b64 v4, v[34:35], v[32:33] offset0:2 offset1:3
	ds_write_b64 v4, v[28:29] offset:32
.LBB0_7:
	s_or_b32 exec_lo, exec_lo, s0
	v_and_b32_e32 v0, 0xff, v66
	s_waitcnt lgkmcnt(0)
	s_barrier
	buffer_gl0_inv
	v_mov_b32_e32 v30, 35
	v_mul_lo_u16 v0, 0xcd, v0
	v_cmp_gt_u16_e64 s0, 35, v66
	v_lshrrev_b16 v26, 10, v0
	v_mul_lo_u16 v0, v26, 5
	v_mul_u32_u24_sdwa v26, v26, v30 dst_sel:DWORD dst_unused:UNUSED_PAD src0_sel:WORD_0 src1_sel:DWORD
	v_sub_nc_u16 v0, v66, v0
	v_and_b32_e32 v27, 0xff, v0
	v_mul_u32_u24_e32 v0, 6, v27
	v_add_lshl_u32 v69, v26, v27, 3
	v_lshlrev_b32_e32 v0, 3, v0
	s_clause 0x2
	global_load_dwordx4 v[8:11], v0, s[4:5]
	global_load_dwordx4 v[4:7], v0, s[4:5] offset:16
	global_load_dwordx4 v[0:3], v0, s[4:5] offset:32
	ds_read2_b64 v[12:15], v65 offset1:50
	ds_read2_b64 v[16:19], v65 offset0:100 offset1:150
	ds_read2_b64 v[20:23], v65 offset0:200 offset1:250
	ds_read_b64 v[24:25], v65 offset:2400
	s_waitcnt vmcnt(0) lgkmcnt(0)
	s_barrier
	buffer_gl0_inv
	v_mul_f32_e32 v26, v15, v9
	v_mul_f32_e32 v27, v14, v9
	;; [unrolled: 1-line block ×12, first 2 shown]
	v_fma_f32 v14, v14, v8, -v26
	v_fmac_f32_e32 v27, v15, v8
	v_fma_f32 v15, v16, v10, -v30
	v_fmac_f32_e32 v31, v17, v10
	;; [unrolled: 2-line block ×6, first 2 shown]
	v_add_f32_e32 v20, v14, v18
	v_add_f32_e32 v21, v27, v43
	;; [unrolled: 1-line block ×4, first 2 shown]
	v_sub_f32_e32 v14, v14, v18
	v_sub_f32_e32 v18, v27, v43
	;; [unrolled: 1-line block ×4, first 2 shown]
	v_add_f32_e32 v24, v16, v17
	v_add_f32_e32 v25, v37, v39
	v_sub_f32_e32 v16, v17, v16
	v_sub_f32_e32 v17, v39, v37
	v_add_f32_e32 v26, v22, v20
	v_add_f32_e32 v27, v23, v21
	v_sub_f32_e32 v30, v22, v20
	v_sub_f32_e32 v31, v23, v21
	;; [unrolled: 1-line block ×6, first 2 shown]
	v_add_f32_e32 v36, v16, v15
	v_add_f32_e32 v37, v17, v19
	v_sub_f32_e32 v38, v16, v15
	v_sub_f32_e32 v39, v17, v19
	;; [unrolled: 1-line block ×4, first 2 shown]
	v_add_f32_e32 v24, v24, v26
	v_add_f32_e32 v25, v25, v27
	v_sub_f32_e32 v16, v14, v16
	v_sub_f32_e32 v17, v18, v17
	v_add_f32_e32 v14, v36, v14
	v_add_f32_e32 v18, v37, v18
	v_mul_f32_e32 v20, 0x3f4a47b2, v20
	v_mul_f32_e32 v21, 0x3f4a47b2, v21
	;; [unrolled: 1-line block ×8, first 2 shown]
	v_add_f32_e32 v36, v12, v24
	v_add_f32_e32 v37, v13, v25
	v_fmamk_f32 v12, v22, 0x3d64c772, v20
	v_fmamk_f32 v13, v23, 0x3d64c772, v21
	v_fma_f32 v22, 0x3f3bfb3b, v30, -v26
	v_fma_f32 v23, 0x3f3bfb3b, v31, -v27
	;; [unrolled: 1-line block ×4, first 2 shown]
	v_fmamk_f32 v26, v16, 0x3eae86e6, v38
	v_fmamk_f32 v27, v17, 0x3eae86e6, v39
	v_fma_f32 v15, 0x3f5ff5aa, v15, -v38
	v_fma_f32 v19, 0x3f5ff5aa, v19, -v39
	;; [unrolled: 1-line block ×4, first 2 shown]
	v_fmamk_f32 v24, v24, 0xbf955555, v36
	v_fmamk_f32 v25, v25, 0xbf955555, v37
	v_fmac_f32_e32 v26, 0x3ee1c552, v14
	v_fmac_f32_e32 v27, 0x3ee1c552, v18
	;; [unrolled: 1-line block ×6, first 2 shown]
	v_add_f32_e32 v12, v12, v24
	v_add_f32_e32 v13, v13, v25
	;; [unrolled: 1-line block ×7, first 2 shown]
	v_sub_f32_e32 v39, v13, v26
	v_add_f32_e32 v40, v17, v18
	v_sub_f32_e32 v41, v20, v16
	v_sub_f32_e32 v42, v14, v19
	v_add_f32_e32 v43, v15, v21
	v_add_f32_e32 v44, v19, v14
	v_sub_f32_e32 v45, v21, v15
	v_sub_f32_e32 v46, v18, v17
	v_add_f32_e32 v47, v16, v20
	v_sub_f32_e32 v30, v12, v27
	v_add_f32_e32 v31, v26, v13
	ds_write2_b64 v69, v[36:37], v[38:39] offset1:5
	ds_write2_b64 v69, v[40:41], v[42:43] offset0:10 offset1:15
	ds_write2_b64 v69, v[44:45], v[46:47] offset0:20 offset1:25
	ds_write_b64 v69, v[30:31] offset:240
	s_waitcnt lgkmcnt(0)
	s_barrier
	buffer_gl0_inv
	s_and_saveexec_b32 s1, s0
	s_cbranch_execz .LBB0_9
; %bb.8:
	v_add_nc_u32_e32 v12, 0x800, v65
	ds_read2_b64 v[30:33], v65 offset0:210 offset1:245
	ds_read2_b64 v[26:29], v12 offset0:24 offset1:59
	ds_read2_b64 v[36:39], v65 offset1:35
	ds_read2_b64 v[40:43], v65 offset0:70 offset1:105
	ds_read2_b64 v[44:47], v65 offset0:140 offset1:175
	s_waitcnt lgkmcnt(4)
	v_mov_b32_e32 v34, v32
	v_mov_b32_e32 v35, v33
	s_waitcnt lgkmcnt(3)
	v_mov_b32_e32 v32, v26
	v_mov_b32_e32 v33, v27
.LBB0_9:
	s_or_b32 exec_lo, exec_lo, s1
	v_subrev_nc_u32_e32 v12, 35, v66
	v_cndmask_b32_e64 v12, v12, v66, s0
	v_mul_i32_i24_e32 v13, 0x48, v12
	v_mul_hi_i32_i24_e32 v12, 0x48, v12
	v_add_co_u32 v63, s1, s4, v13
	v_add_co_ci_u32_e64 v64, s1, s5, v12, s1
	s_clause 0x4
	global_load_dwordx4 v[16:19], v[63:64], off offset:240
	global_load_dwordx4 v[12:15], v[63:64], off offset:256
	;; [unrolled: 1-line block ×4, first 2 shown]
	global_load_dwordx2 v[63:64], v[63:64], off offset:304
	s_waitcnt vmcnt(4) lgkmcnt(2)
	v_mul_f32_e32 v70, v39, v17
	v_mul_f32_e32 v74, v38, v17
	s_waitcnt lgkmcnt(1)
	v_mul_f32_e32 v71, v41, v19
	v_mul_f32_e32 v72, v40, v19
	s_waitcnt vmcnt(3)
	v_mul_f32_e32 v73, v43, v13
	v_mul_f32_e32 v75, v42, v13
	s_waitcnt lgkmcnt(0)
	v_mul_f32_e32 v76, v45, v15
	v_mul_f32_e32 v77, v44, v15
	s_waitcnt vmcnt(2)
	v_mul_f32_e32 v78, v47, v25
	v_mul_f32_e32 v79, v46, v25
	v_mul_f32_e32 v80, v31, v27
	v_mul_f32_e32 v81, v30, v27
	s_waitcnt vmcnt(1)
	v_mul_f32_e32 v82, v35, v21
	v_mul_f32_e32 v83, v34, v21
	;; [unrolled: 5-line block ×3, first 2 shown]
	v_fma_f32 v88, v38, v16, -v70
	v_fmac_f32_e32 v74, v39, v16
	v_fma_f32 v38, v40, v18, -v71
	v_fmac_f32_e32 v72, v41, v18
	;; [unrolled: 2-line block ×9, first 2 shown]
	v_add_f32_e32 v29, v36, v38
	v_add_f32_e32 v33, v40, v30
	v_sub_f32_e32 v42, v38, v40
	v_sub_f32_e32 v43, v32, v30
	v_add_f32_e32 v44, v38, v32
	v_sub_f32_e32 v45, v40, v38
	v_sub_f32_e32 v46, v30, v32
	v_add_f32_e32 v47, v37, v72
	v_add_f32_e32 v70, v77, v81
	v_sub_f32_e32 v76, v72, v77
	v_sub_f32_e32 v78, v85, v81
	v_add_f32_e32 v80, v72, v85
	v_add_f32_e32 v86, v41, v31
	;; [unrolled: 1-line block ×5, first 2 shown]
	v_sub_f32_e32 v34, v72, v85
	v_sub_f32_e32 v71, v38, v32
	;; [unrolled: 1-line block ×4, first 2 shown]
	v_add_f32_e32 v84, v88, v39
	v_sub_f32_e32 v89, v75, v87
	v_sub_f32_e32 v90, v79, v83
	;; [unrolled: 1-line block ×4, first 2 shown]
	v_add_f32_e32 v96, v74, v75
	v_sub_f32_e32 v98, v39, v28
	v_sub_f32_e32 v99, v41, v31
	v_add_f32_e32 v29, v29, v40
	v_fma_f32 v38, -0.5, v33, v36
	v_add_f32_e32 v33, v42, v43
	v_fmac_f32_e32 v36, -0.5, v44
	v_add_f32_e32 v44, v45, v46
	v_add_f32_e32 v42, v47, v77
	v_fma_f32 v39, -0.5, v70, v37
	v_add_f32_e32 v45, v76, v78
	v_fmac_f32_e32 v37, -0.5, v80
	v_fma_f32 v80, -0.5, v86, v88
	v_fmac_f32_e32 v88, -0.5, v93
	v_fma_f32 v78, -0.5, v97, v74
	v_fmac_f32_e32 v74, -0.5, v102
	v_sub_f32_e32 v35, v77, v81
	v_sub_f32_e32 v73, v40, v30
	;; [unrolled: 1-line block ×8, first 2 shown]
	v_add_f32_e32 v72, v72, v82
	v_add_f32_e32 v46, v84, v41
	;; [unrolled: 1-line block ×4, first 2 shown]
	v_fmamk_f32 v81, v89, 0x3f737871, v80
	v_fmac_f32_e32 v80, 0xbf737871, v89
	v_fmamk_f32 v82, v90, 0xbf737871, v88
	v_fmac_f32_e32 v88, 0x3f737871, v90
	;; [unrolled: 2-line block ×4, first 2 shown]
	v_add_f32_e32 v76, v91, v92
	v_add_f32_e32 v77, v94, v95
	;; [unrolled: 1-line block ×5, first 2 shown]
	v_fmamk_f32 v40, v34, 0x3f737871, v38
	v_fmac_f32_e32 v38, 0xbf737871, v34
	v_fmamk_f32 v43, v73, 0x3f737871, v37
	v_fmac_f32_e32 v37, 0xbf737871, v73
	v_fmac_f32_e32 v81, 0x3f167918, v90
	;; [unrolled: 1-line block ×9, first 2 shown]
	v_fmamk_f32 v41, v35, 0xbf737871, v36
	v_fmac_f32_e32 v36, 0x3f737871, v35
	v_fmamk_f32 v42, v71, 0xbf737871, v39
	v_fmac_f32_e32 v39, 0x3f737871, v71
	v_add_f32_e32 v31, v46, v31
	v_fmac_f32_e32 v40, 0x3f167918, v35
	v_fmac_f32_e32 v38, 0xbf167918, v35
	;; [unrolled: 1-line block ×12, first 2 shown]
	v_add_f32_e32 v83, v47, v83
	v_add_f32_e32 v46, v29, v32
	v_fmac_f32_e32 v41, 0x3f167918, v34
	v_fmac_f32_e32 v36, 0xbf167918, v34
	v_add_f32_e32 v47, v30, v85
	v_fmac_f32_e32 v42, 0xbf167918, v73
	v_fmac_f32_e32 v39, 0x3f167918, v73
	;; [unrolled: 3-line block ×3, first 2 shown]
	v_fmac_f32_e32 v43, 0x3e9e377a, v72
	v_fmac_f32_e32 v37, 0x3e9e377a, v72
	v_mul_f32_e32 v73, 0x3f167918, v84
	v_mul_f32_e32 v72, 0x3f737871, v86
	;; [unrolled: 1-line block ×8, first 2 shown]
	v_add_f32_e32 v71, v83, v87
	v_fmac_f32_e32 v41, 0x3e9e377a, v44
	v_fmac_f32_e32 v36, 0x3e9e377a, v44
	;; [unrolled: 1-line block ×6, first 2 shown]
	v_fma_f32 v77, 0x3f737871, v74, -v30
	v_fma_f32 v74, 0x3f167918, v78, -v31
	v_fmac_f32_e32 v75, 0x3f4f1bbd, v84
	v_fmac_f32_e32 v76, 0x3e9e377a, v86
	v_fma_f32 v78, 0xbf737871, v88, -v32
	v_fma_f32 v79, 0xbf167918, v80, -v33
	v_sub_f32_e32 v28, v46, v70
	v_sub_f32_e32 v29, v47, v71
	;; [unrolled: 1-line block ×10, first 2 shown]
	s_and_saveexec_b32 s1, s0
	s_cbranch_execz .LBB0_11
; %bb.10:
	v_add_f32_e32 v43, v43, v76
	v_add_f32_e32 v76, v42, v75
	;; [unrolled: 1-line block ×10, first 2 shown]
	v_add_nc_u32_e32 v40, 0x800, v65
	ds_write2_b64 v65, v[46:47], v[75:76] offset1:35
	ds_write2_b64 v65, v[42:43], v[36:37] offset0:70 offset1:105
	ds_write2_b64 v65, v[38:39], v[28:29] offset0:140 offset1:175
	;; [unrolled: 1-line block ×4, first 2 shown]
.LBB0_11:
	s_or_b32 exec_lo, exec_lo, s1
	v_add_co_u32 v36, s1, 0xaf0, v48
	v_add_co_ci_u32_e64 v37, s1, 0, v49, s1
	s_waitcnt lgkmcnt(0)
	s_barrier
	buffer_gl0_inv
	s_clause 0x1
	global_load_dwordx2 v[42:43], v[50:51], off offset:752
	global_load_dwordx2 v[46:47], v[36:37], off offset:560
	v_add_co_u32 v38, s1, 0x1000, v48
	v_add_co_ci_u32_e64 v39, s1, 0, v49, s1
	s_clause 0x2
	global_load_dwordx2 v[70:71], v[36:37], off offset:1120
	global_load_dwordx2 v[72:73], v[36:37], off offset:1680
	;; [unrolled: 1-line block ×3, first 2 shown]
	ds_read2_b64 v[38:41], v65 offset1:70
	s_waitcnt vmcnt(4) lgkmcnt(0)
	v_mul_f32_e32 v76, v39, v43
	v_mul_f32_e32 v77, v38, v43
	s_waitcnt vmcnt(3)
	v_mul_f32_e32 v78, v41, v47
	v_mul_f32_e32 v43, v40, v47
	v_fma_f32 v76, v38, v42, -v76
	v_fmac_f32_e32 v77, v39, v42
	v_fma_f32 v42, v40, v46, -v78
	v_fmac_f32_e32 v43, v41, v46
	ds_write2_b64 v65, v[76:77], v[42:43] offset1:70
	ds_read2_b64 v[38:41], v65 offset0:140 offset1:210
	ds_read_b64 v[42:43], v65 offset:2240
	s_waitcnt vmcnt(2) lgkmcnt(1)
	v_mul_f32_e32 v46, v39, v71
	v_mul_f32_e32 v47, v38, v71
	s_waitcnt vmcnt(1)
	v_mul_f32_e32 v76, v41, v73
	v_mul_f32_e32 v71, v40, v73
	s_waitcnt vmcnt(0) lgkmcnt(0)
	v_mul_f32_e32 v77, v43, v75
	v_mul_f32_e32 v73, v42, v75
	v_fma_f32 v46, v38, v70, -v46
	v_fmac_f32_e32 v47, v39, v70
	v_fma_f32 v70, v40, v72, -v76
	v_fmac_f32_e32 v71, v41, v72
	;; [unrolled: 2-line block ×3, first 2 shown]
	ds_write2_b64 v65, v[46:47], v[70:71] offset0:140 offset1:210
	ds_write_b64 v65, v[72:73] offset:2240
	s_and_saveexec_b32 s4, vcc_lo
	s_cbranch_execz .LBB0_13
; %bb.12:
	s_clause 0x2
	global_load_dwordx2 v[46:47], v[36:37], off offset:400
	global_load_dwordx2 v[70:71], v[36:37], off offset:960
	;; [unrolled: 1-line block ×3, first 2 shown]
	v_add_co_u32 v36, s1, 0x800, v36
	v_add_co_ci_u32_e64 v37, s1, 0, v37, s1
	v_add_nc_u32_e32 v82, 0x400, v65
	s_clause 0x1
	global_load_dwordx2 v[74:75], v[36:37], off offset:32
	global_load_dwordx2 v[76:77], v[36:37], off offset:592
	ds_read2_b64 v[36:39], v65 offset0:50 offset1:120
	ds_read2_b64 v[40:43], v82 offset0:62 offset1:132
	ds_read_b64 v[78:79], v65 offset:2640
	s_waitcnt vmcnt(4) lgkmcnt(2)
	v_mul_f32_e32 v80, v37, v47
	v_mul_f32_e32 v81, v36, v47
	s_waitcnt vmcnt(3)
	v_mul_f32_e32 v83, v39, v71
	v_mul_f32_e32 v47, v38, v71
	s_waitcnt vmcnt(2) lgkmcnt(1)
	v_mul_f32_e32 v84, v41, v73
	v_mul_f32_e32 v71, v40, v73
	v_fma_f32 v80, v36, v46, -v80
	v_fmac_f32_e32 v81, v37, v46
	v_fma_f32 v46, v38, v70, -v83
	s_waitcnt vmcnt(1)
	v_mul_f32_e32 v36, v43, v75
	v_mul_f32_e32 v37, v42, v75
	v_fmac_f32_e32 v47, v39, v70
	s_waitcnt vmcnt(0) lgkmcnt(0)
	v_mul_f32_e32 v38, v79, v77
	v_mul_f32_e32 v39, v78, v77
	v_fma_f32 v70, v40, v72, -v84
	v_fmac_f32_e32 v71, v41, v72
	v_fma_f32 v36, v42, v74, -v36
	v_fmac_f32_e32 v37, v43, v74
	;; [unrolled: 2-line block ×3, first 2 shown]
	ds_write2_b64 v65, v[80:81], v[46:47] offset0:50 offset1:120
	ds_write2_b64 v82, v[70:71], v[36:37] offset0:62 offset1:132
	ds_write_b64 v65, v[38:39] offset:2640
.LBB0_13:
	s_or_b32 exec_lo, exec_lo, s4
	s_waitcnt lgkmcnt(0)
	s_barrier
	buffer_gl0_inv
	ds_read2_b64 v[36:39], v65 offset1:70
	ds_read2_b64 v[40:43], v65 offset0:140 offset1:210
	ds_read_b64 v[46:47], v65 offset:2240
	s_and_saveexec_b32 s1, vcc_lo
	s_cbranch_execz .LBB0_15
; %bb.14:
	v_add_nc_u32_e32 v32, 0x400, v65
	ds_read2_b64 v[28:31], v65 offset0:50 offset1:120
	ds_read2_b64 v[32:35], v32 offset0:62 offset1:132
	ds_read_b64 v[44:45], v65 offset:2640
.LBB0_15:
	s_or_b32 exec_lo, exec_lo, s1
	s_waitcnt lgkmcnt(2)
	v_add_f32_e32 v71, v36, v38
	s_waitcnt lgkmcnt(1)
	v_add_f32_e32 v70, v40, v42
	;; [unrolled: 2-line block ×3, first 2 shown]
	v_sub_f32_e32 v72, v39, v47
	v_sub_f32_e32 v73, v41, v43
	v_add_f32_e32 v71, v71, v40
	v_fma_f32 v74, -0.5, v70, v36
	v_fma_f32 v78, -0.5, v77, v36
	v_sub_f32_e32 v75, v38, v40
	v_sub_f32_e32 v70, v46, v42
	v_add_f32_e32 v36, v71, v42
	v_fmamk_f32 v76, v72, 0xbf737871, v74
	v_fmac_f32_e32 v74, 0x3f737871, v72
	v_sub_f32_e32 v79, v40, v38
	v_add_f32_e32 v70, v75, v70
	v_add_f32_e32 v82, v36, v46
	;; [unrolled: 1-line block ×3, first 2 shown]
	v_fmac_f32_e32 v76, 0xbf167918, v73
	v_sub_f32_e32 v71, v42, v46
	v_fmamk_f32 v80, v73, 0x3f737871, v78
	v_fmac_f32_e32 v74, 0x3f167918, v73
	v_fmac_f32_e32 v78, 0xbf737871, v73
	v_add_f32_e32 v73, v41, v43
	v_add_f32_e32 v36, v36, v41
	v_sub_f32_e32 v38, v38, v46
	v_add_f32_e32 v46, v39, v47
	v_fmac_f32_e32 v76, 0x3e9e377a, v70
	v_add_f32_e32 v71, v79, v71
	v_fma_f32 v75, -0.5, v73, v37
	v_fmac_f32_e32 v74, 0x3e9e377a, v70
	v_add_f32_e32 v36, v36, v43
	v_sub_f32_e32 v40, v40, v42
	v_sub_f32_e32 v42, v39, v41
	v_sub_f32_e32 v70, v47, v43
	v_fma_f32 v79, -0.5, v46, v37
	v_sub_f32_e32 v37, v41, v39
	v_sub_f32_e32 v39, v43, v47
	v_add_f32_e32 v41, v32, v34
	v_fmamk_f32 v77, v38, 0x3f737871, v75
	v_fmac_f32_e32 v75, 0xbf737871, v38
	v_add_f32_e32 v83, v36, v47
	v_add_f32_e32 v36, v42, v70
	v_fmamk_f32 v81, v40, 0xbf737871, v79
	v_add_f32_e32 v37, v37, v39
	v_fmac_f32_e32 v79, 0x3f737871, v40
	v_fma_f32 v42, -0.5, v41, v28
	v_add_f32_e32 v39, v30, v44
	v_sub_f32_e32 v41, v30, v32
	v_sub_f32_e32 v46, v44, v34
	v_fmac_f32_e32 v77, 0x3f167918, v40
	v_fmac_f32_e32 v75, 0xbf167918, v40
	;; [unrolled: 1-line block ×3, first 2 shown]
	v_fma_f32 v40, -0.5, v39, v28
	v_fmac_f32_e32 v79, 0xbf167918, v38
	v_add_f32_e32 v46, v41, v46
	v_sub_f32_e32 v39, v32, v30
	v_sub_f32_e32 v41, v34, v44
	v_fmac_f32_e32 v80, 0xbf167918, v72
	v_fmac_f32_e32 v78, 0x3f167918, v72
	;; [unrolled: 1-line block ×4, first 2 shown]
	v_add_f32_e32 v37, v33, v35
	v_add_f32_e32 v84, v39, v41
	;; [unrolled: 1-line block ×3, first 2 shown]
	v_fmac_f32_e32 v80, 0x3e9e377a, v71
	v_fmac_f32_e32 v78, 0x3e9e377a, v71
	v_sub_f32_e32 v43, v31, v45
	v_sub_f32_e32 v47, v33, v35
	v_fma_f32 v70, -0.5, v37, v29
	v_sub_f32_e32 v73, v30, v44
	v_sub_f32_e32 v71, v32, v34
	v_fma_f32 v41, -0.5, v39, v29
	v_fmac_f32_e32 v77, 0x3e9e377a, v36
	v_fmac_f32_e32 v75, 0x3e9e377a, v36
	v_fmamk_f32 v36, v43, 0x3f737871, v42
	v_fmamk_f32 v38, v47, 0x3f737871, v40
	v_fmac_f32_e32 v40, 0xbf737871, v47
	v_sub_f32_e32 v72, v31, v33
	v_sub_f32_e32 v85, v45, v35
	v_fmamk_f32 v37, v73, 0xbf737871, v70
	v_fmamk_f32 v39, v71, 0xbf737871, v41
	v_sub_f32_e32 v86, v33, v31
	v_sub_f32_e32 v87, v35, v45
	v_fmac_f32_e32 v41, 0x3f737871, v71
	v_fmac_f32_e32 v36, 0x3f167918, v47
	;; [unrolled: 1-line block ×4, first 2 shown]
	v_add_f32_e32 v72, v72, v85
	v_fmac_f32_e32 v37, 0xbf167918, v71
	v_fmac_f32_e32 v39, 0x3f167918, v73
	v_add_f32_e32 v85, v86, v87
	v_fmac_f32_e32 v41, 0xbf167918, v73
	v_fmac_f32_e32 v36, 0x3e9e377a, v46
	;; [unrolled: 1-line block ×7, first 2 shown]
	s_barrier
	buffer_gl0_inv
	ds_write2_b64 v68, v[82:83], v[76:77] offset1:1
	ds_write2_b64 v68, v[80:81], v[78:79] offset0:2 offset1:3
	ds_write_b64 v68, v[74:75] offset:32
	s_and_saveexec_b32 s1, vcc_lo
	s_cbranch_execz .LBB0_17
; %bb.16:
	v_mul_f32_e32 v43, 0x3f737871, v43
	v_mul_f32_e32 v68, 0x3f737871, v73
	v_add_f32_e32 v29, v29, v31
	v_add_f32_e32 v28, v28, v30
	v_mul_f32_e32 v47, 0x3f167918, v47
	v_mul_f32_e32 v30, 0x3f167918, v71
	v_add_f32_e32 v31, v68, v70
	v_add_f32_e32 v29, v29, v33
	v_sub_f32_e32 v33, v42, v43
	v_add_f32_e32 v28, v28, v32
	v_mul_f32_e32 v46, 0x3e9e377a, v46
	v_mul_f32_e32 v32, 0x3e9e377a, v72
	v_add_f32_e32 v30, v30, v31
	v_add_f32_e32 v31, v29, v35
	v_sub_f32_e32 v33, v33, v47
	v_add_f32_e32 v34, v28, v34
	v_add_f32_e32 v29, v32, v30
	;; [unrolled: 1-line block ×5, first 2 shown]
	v_lshlrev_b32_e32 v32, 3, v67
	ds_write2_b64 v32, v[30:31], v[28:29] offset1:1
	ds_write2_b64 v32, v[38:39], v[40:41] offset0:2 offset1:3
	ds_write_b64 v32, v[36:37] offset:32
.LBB0_17:
	s_or_b32 exec_lo, exec_lo, s1
	s_waitcnt lgkmcnt(0)
	s_barrier
	buffer_gl0_inv
	ds_read2_b64 v[28:31], v65 offset1:50
	ds_read2_b64 v[32:35], v65 offset0:100 offset1:150
	ds_read2_b64 v[42:45], v65 offset0:200 offset1:250
	ds_read_b64 v[46:47], v65 offset:2400
	s_waitcnt lgkmcnt(0)
	s_barrier
	buffer_gl0_inv
	v_mul_f32_e32 v67, v9, v31
	v_mul_f32_e32 v9, v9, v30
	;; [unrolled: 1-line block ×12, first 2 shown]
	v_fmac_f32_e32 v67, v8, v30
	v_fma_f32 v8, v8, v31, -v9
	v_fmac_f32_e32 v68, v10, v32
	v_fma_f32 v9, v10, v33, -v11
	;; [unrolled: 2-line block ×6, first 2 shown]
	v_add_f32_e32 v1, v67, v73
	v_add_f32_e32 v5, v8, v2
	v_sub_f32_e32 v2, v8, v2
	v_add_f32_e32 v7, v68, v72
	v_add_f32_e32 v8, v9, v0
	v_sub_f32_e32 v6, v67, v73
	v_sub_f32_e32 v10, v68, v72
	;; [unrolled: 1-line block ×3, first 2 shown]
	v_add_f32_e32 v9, v70, v71
	v_add_f32_e32 v11, v4, v3
	v_sub_f32_e32 v30, v71, v70
	v_sub_f32_e32 v3, v3, v4
	v_add_f32_e32 v4, v7, v1
	v_add_f32_e32 v31, v8, v5
	v_sub_f32_e32 v32, v7, v1
	v_sub_f32_e32 v33, v8, v5
	;; [unrolled: 1-line block ×6, first 2 shown]
	v_add_f32_e32 v1, v30, v10
	v_add_f32_e32 v35, v3, v0
	v_sub_f32_e32 v42, v30, v10
	v_sub_f32_e32 v43, v3, v0
	;; [unrolled: 1-line block ×3, first 2 shown]
	v_add_f32_e32 v4, v9, v4
	v_add_f32_e32 v9, v11, v31
	v_sub_f32_e32 v11, v0, v2
	v_sub_f32_e32 v30, v6, v30
	;; [unrolled: 1-line block ×3, first 2 shown]
	v_add_f32_e32 v6, v1, v6
	v_add_f32_e32 v2, v35, v2
	;; [unrolled: 1-line block ×4, first 2 shown]
	v_mul_f32_e32 v28, 0x3f4a47b2, v34
	v_mul_f32_e32 v5, 0x3f4a47b2, v5
	;; [unrolled: 1-line block ×8, first 2 shown]
	v_fmamk_f32 v4, v4, 0xbf955555, v0
	v_fmamk_f32 v9, v9, 0xbf955555, v1
	v_fmamk_f32 v7, v7, 0x3d64c772, v28
	v_fmamk_f32 v8, v8, 0x3d64c772, v5
	v_fma_f32 v29, 0x3f3bfb3b, v32, -v29
	v_fma_f32 v31, 0x3f3bfb3b, v33, -v31
	v_fma_f32 v28, 0xbf3bfb3b, v32, -v28
	v_fma_f32 v5, 0xbf3bfb3b, v33, -v5
	v_fmamk_f32 v32, v30, 0xbeae86e6, v34
	v_fmamk_f32 v33, v3, 0xbeae86e6, v35
	v_fma_f32 v10, 0xbf5ff5aa, v10, -v34
	v_fma_f32 v11, 0xbf5ff5aa, v11, -v35
	;; [unrolled: 1-line block ×4, first 2 shown]
	v_add_f32_e32 v35, v7, v4
	v_add_f32_e32 v42, v8, v9
	v_add_f32_e32 v8, v29, v4
	v_add_f32_e32 v29, v31, v9
	v_add_f32_e32 v28, v28, v4
	v_add_f32_e32 v31, v5, v9
	v_fmac_f32_e32 v32, 0xbee1c552, v6
	v_fmac_f32_e32 v33, 0xbee1c552, v2
	;; [unrolled: 1-line block ×6, first 2 shown]
	v_add_f32_e32 v2, v33, v35
	v_sub_f32_e32 v3, v42, v32
	v_add_f32_e32 v4, v34, v28
	v_sub_f32_e32 v5, v31, v30
	v_sub_f32_e32 v6, v8, v11
	v_add_f32_e32 v7, v10, v29
	v_add_f32_e32 v8, v11, v8
	v_sub_f32_e32 v9, v29, v10
	v_sub_f32_e32 v10, v28, v34
	v_add_f32_e32 v11, v30, v31
	v_sub_f32_e32 v28, v35, v33
	v_add_f32_e32 v29, v32, v42
	ds_write2_b64 v69, v[0:1], v[2:3] offset1:5
	ds_write2_b64 v69, v[4:5], v[6:7] offset0:10 offset1:15
	ds_write2_b64 v69, v[8:9], v[10:11] offset0:20 offset1:25
	ds_write_b64 v69, v[28:29] offset:240
	s_waitcnt lgkmcnt(0)
	s_barrier
	buffer_gl0_inv
	s_and_saveexec_b32 s1, s0
	s_cbranch_execz .LBB0_19
; %bb.18:
	v_add_nc_u32_e32 v0, 0x800, v65
	ds_read2_b64 v[28:31], v65 offset0:210 offset1:245
	ds_read2_b64 v[34:37], v0 offset0:24 offset1:59
	ds_read2_b64 v[0:3], v65 offset1:35
	ds_read2_b64 v[4:7], v65 offset0:70 offset1:105
	ds_read2_b64 v[8:11], v65 offset0:140 offset1:175
	s_waitcnt lgkmcnt(4)
	v_mov_b32_e32 v38, v30
	v_mov_b32_e32 v39, v31
	s_waitcnt lgkmcnt(3)
	v_mov_b32_e32 v40, v34
	v_mov_b32_e32 v41, v35
.LBB0_19:
	s_or_b32 exec_lo, exec_lo, s1
	s_and_saveexec_b32 s1, s0
	s_cbranch_execz .LBB0_21
; %bb.20:
	s_waitcnt lgkmcnt(0)
	v_mul_f32_e32 v30, v15, v8
	v_mul_f32_e32 v31, v27, v28
	;; [unrolled: 1-line block ×5, first 2 shown]
	v_fma_f32 v30, v14, v9, -v30
	v_fma_f32 v31, v26, v29, -v31
	v_mul_f32_e32 v23, v23, v41
	v_fma_f32 v5, v18, v5, -v32
	v_fma_f32 v32, v22, v41, -v33
	v_mul_f32_e32 v9, v15, v9
	v_add_f32_e32 v33, v31, v30
	v_fmac_f32_e32 v23, v22, v40
	v_mul_f32_e32 v15, v27, v29
	v_mul_f32_e32 v29, v13, v7
	v_fmac_f32_e32 v9, v14, v8
	v_fma_f32 v22, -0.5, v33, v1
	v_mul_f32_e32 v33, v25, v11
	v_mul_f32_e32 v14, v64, v37
	v_fmac_f32_e32 v15, v26, v28
	v_fmac_f32_e32 v29, v12, v6
	v_mul_f32_e32 v26, v21, v39
	v_fmac_f32_e32 v33, v24, v10
	v_mul_f32_e32 v8, v25, v10
	v_fmac_f32_e32 v14, v63, v36
	v_mul_f32_e32 v10, v21, v38
	v_mul_f32_e32 v21, v17, v3
	v_fmac_f32_e32 v26, v20, v38
	v_fma_f32 v8, v24, v11, -v8
	v_mul_f32_e32 v11, v17, v2
	v_fma_f32 v10, v20, v39, -v10
	v_fmac_f32_e32 v21, v16, v2
	v_mul_f32_e32 v2, v13, v6
	v_mul_f32_e32 v6, v64, v36
	v_add_f32_e32 v40, v29, v14
	v_add_f32_e32 v13, v33, v26
	v_sub_f32_e32 v35, v8, v10
	v_fma_f32 v7, v12, v7, -v2
	v_fma_f32 v12, v63, v37, -v6
	v_fma_f32 v40, -0.5, v40, v21
	v_fmac_f32_e32 v19, v18, v4
	v_fma_f32 v3, v16, v3, -v11
	v_add_f32_e32 v11, v8, v10
	v_fma_f32 v13, -0.5, v13, v21
	v_sub_f32_e32 v16, v7, v12
	v_add_f32_e32 v38, v7, v12
	v_fmamk_f32 v47, v35, 0xbf737871, v40
	v_fmac_f32_e32 v40, 0x3f737871, v35
	v_sub_f32_e32 v4, v5, v30
	v_sub_f32_e32 v18, v32, v31
	;; [unrolled: 1-line block ×3, first 2 shown]
	v_fma_f32 v11, -0.5, v11, v3
	v_sub_f32_e32 v17, v7, v8
	v_sub_f32_e32 v20, v12, v10
	v_fmamk_f32 v34, v16, 0x3f737871, v13
	v_fma_f32 v38, -0.5, v38, v3
	v_fmac_f32_e32 v47, 0x3f167918, v16
	v_fmac_f32_e32 v40, 0xbf167918, v16
	;; [unrolled: 1-line block ×3, first 2 shown]
	v_add_f32_e32 v16, v15, v9
	v_add_f32_e32 v3, v7, v3
	v_sub_f32_e32 v2, v29, v33
	v_sub_f32_e32 v28, v14, v26
	v_add_f32_e32 v17, v17, v20
	v_fmamk_f32 v20, v27, 0xbf737871, v22
	v_sub_f32_e32 v36, v9, v15
	v_add_f32_e32 v18, v18, v4
	v_add_f32_e32 v4, v32, v5
	v_sub_f32_e32 v43, v8, v7
	v_fmac_f32_e32 v22, 0x3f737871, v27
	v_fma_f32 v7, -0.5, v16, v0
	v_add_f32_e32 v3, v8, v3
	v_sub_f32_e32 v8, v19, v9
	v_sub_f32_e32 v16, v23, v15
	v_sub_f32_e32 v6, v29, v14
	v_add_f32_e32 v28, v2, v28
	v_fmac_f32_e32 v34, 0x3f167918, v35
	v_fmac_f32_e32 v20, 0xbf167918, v36
	v_fma_f32 v42, -0.5, v4, v1
	v_fmac_f32_e32 v13, 0xbf167918, v35
	v_fmac_f32_e32 v22, 0x3f167918, v36
	v_add_f32_e32 v1, v5, v1
	v_add_f32_e32 v3, v10, v3
	;; [unrolled: 1-line block ×4, first 2 shown]
	v_sub_f32_e32 v25, v33, v26
	v_fmamk_f32 v24, v6, 0xbf737871, v11
	v_fmac_f32_e32 v34, 0x3e9e377a, v28
	v_fmac_f32_e32 v20, 0x3e9e377a, v18
	v_sub_f32_e32 v39, v30, v5
	v_sub_f32_e32 v44, v10, v12
	v_fmac_f32_e32 v11, 0x3f737871, v6
	v_fmac_f32_e32 v13, 0x3e9e377a, v28
	;; [unrolled: 1-line block ×3, first 2 shown]
	v_add_f32_e32 v1, v30, v1
	v_sub_f32_e32 v18, v30, v31
	v_add_f32_e32 v28, v12, v3
	v_fma_f32 v30, -0.5, v8, v0
	v_sub_f32_e32 v3, v9, v19
	v_sub_f32_e32 v12, v15, v23
	v_fmamk_f32 v45, v25, 0x3f737871, v38
	v_fmac_f32_e32 v38, 0xbf737871, v25
	v_fmac_f32_e32 v24, 0xbf167918, v25
	v_sub_f32_e32 v41, v31, v32
	v_fmac_f32_e32 v11, 0x3f167918, v25
	v_sub_f32_e32 v5, v5, v32
	v_add_f32_e32 v1, v31, v1
	v_fmamk_f32 v31, v18, 0xbf737871, v30
	v_add_f32_e32 v3, v12, v3
	v_fmac_f32_e32 v30, 0x3f737871, v18
	v_add_f32_e32 v0, v19, v0
	v_add_f32_e32 v12, v29, v21
	v_sub_f32_e32 v4, v33, v29
	v_sub_f32_e32 v46, v26, v14
	v_add_f32_e32 v43, v43, v44
	v_fmac_f32_e32 v45, 0xbf167918, v6
	v_fmac_f32_e32 v38, 0x3f167918, v6
	;; [unrolled: 1-line block ×4, first 2 shown]
	v_fmamk_f32 v25, v5, 0x3f737871, v7
	v_fmac_f32_e32 v31, 0x3f167918, v5
	v_fmac_f32_e32 v30, 0xbf167918, v5
	v_add_f32_e32 v0, v9, v0
	v_add_f32_e32 v9, v33, v12
	v_fmac_f32_e32 v7, 0xbf737871, v5
	v_fmamk_f32 v63, v36, 0x3f737871, v42
	v_add_f32_e32 v4, v4, v46
	v_fmac_f32_e32 v45, 0x3e9e377a, v43
	v_fmac_f32_e32 v42, 0xbf737871, v36
	;; [unrolled: 1-line block ×3, first 2 shown]
	v_mul_f32_e32 v37, 0xbf4f1bbd, v24
	v_mul_f32_e32 v17, 0x3f4f1bbd, v11
	v_fmac_f32_e32 v31, 0x3e9e377a, v3
	v_fmac_f32_e32 v30, 0x3e9e377a, v3
	v_add_f32_e32 v0, v15, v0
	v_add_f32_e32 v3, v26, v9
	v_fmac_f32_e32 v7, 0xbf167918, v18
	v_mul_f32_e32 v26, 0xbf167918, v11
	v_add_f32_e32 v39, v41, v39
	v_fmac_f32_e32 v63, 0xbf167918, v27
	v_fmac_f32_e32 v47, 0x3e9e377a, v4
	v_mul_f32_e32 v41, 0xbe9e377a, v45
	v_fmac_f32_e32 v42, 0x3f167918, v27
	v_fmac_f32_e32 v40, 0x3e9e377a, v4
	v_mul_f32_e32 v43, 0x3e9e377a, v38
	v_add_f32_e32 v27, v32, v1
	v_mul_f32_e32 v32, 0xbf737871, v45
	v_mul_f32_e32 v21, 0xbf737871, v38
	v_fmac_f32_e32 v25, 0x3f167918, v18
	v_mul_f32_e32 v24, 0xbf167918, v24
	v_fmac_f32_e32 v37, 0x3f167918, v34
	v_fmac_f32_e32 v17, 0x3f167918, v13
	v_add_f32_e32 v0, v23, v0
	v_add_f32_e32 v11, v14, v3
	v_fmac_f32_e32 v7, 0x3e9e377a, v16
	v_fmac_f32_e32 v26, 0x3f4f1bbd, v13
	;; [unrolled: 1-line block ×10, first 2 shown]
	v_sub_f32_e32 v2, v20, v37
	v_sub_f32_e32 v8, v22, v17
	v_add_f32_e32 v12, v20, v37
	v_add_f32_e32 v18, v22, v17
	;; [unrolled: 1-line block ×9, first 2 shown]
	v_sub_f32_e32 v10, v27, v28
	v_sub_f32_e32 v9, v0, v11
	v_add_f32_e32 v11, v25, v24
	v_sub_f32_e32 v6, v42, v43
	v_sub_f32_e32 v5, v30, v21
	;; [unrolled: 1-line block ×6, first 2 shown]
	v_add_nc_u32_e32 v0, 0x800, v65
	ds_write2_b64 v65, v[19:20], v[17:18] offset1:35
	ds_write2_b64 v65, v[15:16], v[13:14] offset0:70 offset1:105
	ds_write2_b64 v65, v[11:12], v[9:10] offset0:140 offset1:175
	;; [unrolled: 1-line block ×4, first 2 shown]
.LBB0_21:
	s_or_b32 exec_lo, exec_lo, s1
	s_waitcnt lgkmcnt(0)
	s_barrier
	buffer_gl0_inv
	ds_read2_b64 v[0:3], v65 offset1:70
	ds_read2_b64 v[4:7], v65 offset0:140 offset1:210
	ds_read_b64 v[12:13], v65 offset:2240
	v_mad_u64_u32 v[8:9], null, s10, v52, 0
	v_mad_u64_u32 v[10:11], null, s8, v66, 0
	s_mov_b32 s4, 0xe434a9b1
	s_mov_b32 s5, 0x3f6767dc
	s_mul_i32 s1, s9, 0x46
	v_mad_u64_u32 v[14:15], null, s11, v52, v[9:10]
	s_waitcnt lgkmcnt(2)
	v_mul_f32_e32 v9, v54, v1
	s_waitcnt lgkmcnt(1)
	v_mul_f32_e32 v19, v56, v5
	v_mul_f32_e32 v15, v54, v0
	;; [unrolled: 1-line block ×4, first 2 shown]
	v_fmac_f32_e32 v9, v53, v0
	v_fmac_f32_e32 v19, v55, v4
	v_mul_f32_e32 v4, v60, v6
	v_mul_f32_e32 v17, v58, v2
	v_fma_f32 v15, v53, v1, -v15
	v_cvt_f64_f32_e32 v[0:1], v9
	s_waitcnt lgkmcnt(0)
	v_mul_f32_e32 v9, v62, v13
	v_mul_f32_e32 v23, v62, v12
	v_fma_f32 v5, v55, v5, -v21
	v_fma_f32 v21, v59, v7, -v4
	v_mul_f32_e32 v22, v60, v7
	v_fmac_f32_e32 v16, v57, v2
	v_fma_f32 v17, v57, v3, -v17
	v_fmac_f32_e32 v9, v61, v12
	v_fma_f32 v23, v61, v13, -v23
	v_cvt_f64_f32_e32 v[12:13], v21
	v_fmac_f32_e32 v22, v59, v6
	v_cvt_f64_f32_e32 v[2:3], v15
	v_cvt_f64_f32_e32 v[15:16], v16
	;; [unrolled: 1-line block ×8, first 2 shown]
	v_mov_b32_e32 v9, v14
	v_mul_f64 v[0:1], v[0:1], s[4:5]
	v_lshlrev_b64 v[8:9], 3, v[8:9]
	v_add_co_u32 v8, s0, s2, v8
	v_mad_u64_u32 v[25:26], null, s9, v66, v[11:12]
	v_mul_f64 v[2:3], v[2:3], s[4:5]
	v_mul_f64 v[14:15], v[15:16], s[4:5]
	v_mul_f64 v[4:5], v[4:5], s[4:5]
	v_mul_f64 v[12:13], v[12:13], s[4:5]
	v_mul_f64 v[16:17], v[17:18], s[4:5]
	v_mul_f64 v[18:19], v[19:20], s[4:5]
	v_mul_f64 v[6:7], v[6:7], s[4:5]
	v_mov_b32_e32 v11, v25
	v_mul_f64 v[20:21], v[21:22], s[4:5]
	v_mul_f64 v[22:23], v[23:24], s[4:5]
	v_add_co_ci_u32_e64 v9, s0, s3, v9, s0
	v_lshlrev_b64 v[10:11], 3, v[10:11]
	s_mul_hi_u32 s2, s8, 0x46
	s_add_i32 s1, s2, s1
	v_add_co_u32 v8, s0, v8, v10
	v_add_co_ci_u32_e64 v9, s0, v9, v11, s0
	s_mul_i32 s0, s8, 0x46
	v_cvt_f32_f64_e32 v10, v[0:1]
	s_lshl_b64 s[2:3], s[0:1], 3
	v_cvt_f32_f64_e32 v11, v[2:3]
	v_cvt_f32_f64_e32 v2, v[14:15]
	;; [unrolled: 1-line block ×4, first 2 shown]
	v_add_co_u32 v12, s0, v8, s2
	v_cvt_f32_f64_e32 v3, v[16:17]
	v_cvt_f32_f64_e32 v14, v[18:19]
	v_add_co_ci_u32_e64 v13, s0, s3, v9, s0
	v_cvt_f32_f64_e32 v4, v[6:7]
	v_cvt_f32_f64_e32 v6, v[20:21]
	;; [unrolled: 1-line block ×3, first 2 shown]
	v_add_co_u32 v16, s0, v12, s2
	v_add_co_ci_u32_e64 v17, s0, s3, v13, s0
	v_add_co_u32 v18, s0, v16, s2
	v_add_co_ci_u32_e64 v19, s0, s3, v17, s0
	;; [unrolled: 2-line block ×3, first 2 shown]
	global_store_dwordx2 v[8:9], v[10:11], off
	global_store_dwordx2 v[12:13], v[2:3], off
	;; [unrolled: 1-line block ×5, first 2 shown]
	s_and_b32 exec_lo, exec_lo, vcc_lo
	s_cbranch_execz .LBB0_23
; %bb.22:
	s_clause 0x4
	global_load_dwordx2 v[10:11], v[48:49], off offset:400
	global_load_dwordx2 v[12:13], v[48:49], off offset:960
	;; [unrolled: 1-line block ×5, first 2 shown]
	v_add_nc_u32_e32 v6, 0x400, v65
	v_mad_u64_u32 v[0:1], null, 0xfffff8d0, s8, v[0:1]
	ds_read2_b64 v[2:5], v65 offset0:50 offset1:120
	ds_read2_b64 v[6:9], v6 offset0:62 offset1:132
	ds_read_b64 v[20:21], v65 offset:2640
	s_mul_i32 s0, s9, 0xfffff8d0
	s_sub_i32 s0, s0, s8
	v_add_nc_u32_e32 v1, s0, v1
	s_waitcnt vmcnt(4) lgkmcnt(2)
	v_mul_f32_e32 v22, v3, v11
	v_mul_f32_e32 v11, v2, v11
	s_waitcnt vmcnt(3)
	v_mul_f32_e32 v23, v5, v13
	v_mul_f32_e32 v13, v4, v13
	s_waitcnt vmcnt(2) lgkmcnt(1)
	v_mul_f32_e32 v24, v7, v15
	v_mul_f32_e32 v15, v6, v15
	s_waitcnt vmcnt(1)
	v_mul_f32_e32 v25, v9, v17
	v_mul_f32_e32 v17, v8, v17
	s_waitcnt vmcnt(0) lgkmcnt(0)
	v_mul_f32_e32 v26, v21, v19
	v_mul_f32_e32 v19, v20, v19
	v_fmac_f32_e32 v22, v2, v10
	v_fma_f32 v10, v10, v3, -v11
	v_fmac_f32_e32 v23, v4, v12
	v_fma_f32 v11, v12, v5, -v13
	;; [unrolled: 2-line block ×5, first 2 shown]
	v_cvt_f64_f32_e32 v[2:3], v22
	v_cvt_f64_f32_e32 v[4:5], v10
	;; [unrolled: 1-line block ×10, first 2 shown]
	v_mul_f64 v[2:3], v[2:3], s[4:5]
	v_mul_f64 v[4:5], v[4:5], s[4:5]
	;; [unrolled: 1-line block ×10, first 2 shown]
	v_cvt_f32_f64_e32 v2, v[2:3]
	v_cvt_f32_f64_e32 v3, v[4:5]
	;; [unrolled: 1-line block ×10, first 2 shown]
	v_add_co_u32 v12, vcc_lo, v0, s2
	v_add_co_ci_u32_e32 v13, vcc_lo, s3, v1, vcc_lo
	v_add_co_u32 v14, vcc_lo, v12, s2
	v_add_co_ci_u32_e32 v15, vcc_lo, s3, v13, vcc_lo
	;; [unrolled: 2-line block ×4, first 2 shown]
	global_store_dwordx2 v[0:1], v[2:3], off
	global_store_dwordx2 v[12:13], v[4:5], off
	;; [unrolled: 1-line block ×5, first 2 shown]
.LBB0_23:
	s_endpgm
	.section	.rodata,"a",@progbits
	.p2align	6, 0x0
	.amdhsa_kernel bluestein_single_back_len350_dim1_sp_op_CI_CI
		.amdhsa_group_segment_fixed_size 2800
		.amdhsa_private_segment_fixed_size 0
		.amdhsa_kernarg_size 104
		.amdhsa_user_sgpr_count 6
		.amdhsa_user_sgpr_private_segment_buffer 1
		.amdhsa_user_sgpr_dispatch_ptr 0
		.amdhsa_user_sgpr_queue_ptr 0
		.amdhsa_user_sgpr_kernarg_segment_ptr 1
		.amdhsa_user_sgpr_dispatch_id 0
		.amdhsa_user_sgpr_flat_scratch_init 0
		.amdhsa_user_sgpr_private_segment_size 0
		.amdhsa_wavefront_size32 1
		.amdhsa_uses_dynamic_stack 0
		.amdhsa_system_sgpr_private_segment_wavefront_offset 0
		.amdhsa_system_sgpr_workgroup_id_x 1
		.amdhsa_system_sgpr_workgroup_id_y 0
		.amdhsa_system_sgpr_workgroup_id_z 0
		.amdhsa_system_sgpr_workgroup_info 0
		.amdhsa_system_vgpr_workitem_id 0
		.amdhsa_next_free_vgpr 104
		.amdhsa_next_free_sgpr 16
		.amdhsa_reserve_vcc 1
		.amdhsa_reserve_flat_scratch 0
		.amdhsa_float_round_mode_32 0
		.amdhsa_float_round_mode_16_64 0
		.amdhsa_float_denorm_mode_32 3
		.amdhsa_float_denorm_mode_16_64 3
		.amdhsa_dx10_clamp 1
		.amdhsa_ieee_mode 1
		.amdhsa_fp16_overflow 0
		.amdhsa_workgroup_processor_mode 1
		.amdhsa_memory_ordered 1
		.amdhsa_forward_progress 0
		.amdhsa_shared_vgpr_count 0
		.amdhsa_exception_fp_ieee_invalid_op 0
		.amdhsa_exception_fp_denorm_src 0
		.amdhsa_exception_fp_ieee_div_zero 0
		.amdhsa_exception_fp_ieee_overflow 0
		.amdhsa_exception_fp_ieee_underflow 0
		.amdhsa_exception_fp_ieee_inexact 0
		.amdhsa_exception_int_div_zero 0
	.end_amdhsa_kernel
	.text
.Lfunc_end0:
	.size	bluestein_single_back_len350_dim1_sp_op_CI_CI, .Lfunc_end0-bluestein_single_back_len350_dim1_sp_op_CI_CI
                                        ; -- End function
	.section	.AMDGPU.csdata,"",@progbits
; Kernel info:
; codeLenInByte = 8260
; NumSgprs: 18
; NumVgprs: 104
; ScratchSize: 0
; MemoryBound: 0
; FloatMode: 240
; IeeeMode: 1
; LDSByteSize: 2800 bytes/workgroup (compile time only)
; SGPRBlocks: 2
; VGPRBlocks: 12
; NumSGPRsForWavesPerEU: 18
; NumVGPRsForWavesPerEU: 104
; Occupancy: 9
; WaveLimiterHint : 1
; COMPUTE_PGM_RSRC2:SCRATCH_EN: 0
; COMPUTE_PGM_RSRC2:USER_SGPR: 6
; COMPUTE_PGM_RSRC2:TRAP_HANDLER: 0
; COMPUTE_PGM_RSRC2:TGID_X_EN: 1
; COMPUTE_PGM_RSRC2:TGID_Y_EN: 0
; COMPUTE_PGM_RSRC2:TGID_Z_EN: 0
; COMPUTE_PGM_RSRC2:TIDIG_COMP_CNT: 0
	.text
	.p2alignl 6, 3214868480
	.fill 48, 4, 3214868480
	.type	__hip_cuid_904d6f772d2804dc,@object ; @__hip_cuid_904d6f772d2804dc
	.section	.bss,"aw",@nobits
	.globl	__hip_cuid_904d6f772d2804dc
__hip_cuid_904d6f772d2804dc:
	.byte	0                               ; 0x0
	.size	__hip_cuid_904d6f772d2804dc, 1

	.ident	"AMD clang version 19.0.0git (https://github.com/RadeonOpenCompute/llvm-project roc-6.4.0 25133 c7fe45cf4b819c5991fe208aaa96edf142730f1d)"
	.section	".note.GNU-stack","",@progbits
	.addrsig
	.addrsig_sym __hip_cuid_904d6f772d2804dc
	.amdgpu_metadata
---
amdhsa.kernels:
  - .args:
      - .actual_access:  read_only
        .address_space:  global
        .offset:         0
        .size:           8
        .value_kind:     global_buffer
      - .actual_access:  read_only
        .address_space:  global
        .offset:         8
        .size:           8
        .value_kind:     global_buffer
      - .actual_access:  read_only
        .address_space:  global
        .offset:         16
        .size:           8
        .value_kind:     global_buffer
      - .actual_access:  read_only
        .address_space:  global
        .offset:         24
        .size:           8
        .value_kind:     global_buffer
      - .actual_access:  read_only
        .address_space:  global
        .offset:         32
        .size:           8
        .value_kind:     global_buffer
      - .offset:         40
        .size:           8
        .value_kind:     by_value
      - .address_space:  global
        .offset:         48
        .size:           8
        .value_kind:     global_buffer
      - .address_space:  global
        .offset:         56
        .size:           8
        .value_kind:     global_buffer
      - .address_space:  global
        .offset:         64
        .size:           8
        .value_kind:     global_buffer
      - .address_space:  global
        .offset:         72
        .size:           8
        .value_kind:     global_buffer
      - .offset:         80
        .size:           4
        .value_kind:     by_value
      - .address_space:  global
        .offset:         88
        .size:           8
        .value_kind:     global_buffer
      - .address_space:  global
        .offset:         96
        .size:           8
        .value_kind:     global_buffer
    .group_segment_fixed_size: 2800
    .kernarg_segment_align: 8
    .kernarg_segment_size: 104
    .language:       OpenCL C
    .language_version:
      - 2
      - 0
    .max_flat_workgroup_size: 50
    .name:           bluestein_single_back_len350_dim1_sp_op_CI_CI
    .private_segment_fixed_size: 0
    .sgpr_count:     18
    .sgpr_spill_count: 0
    .symbol:         bluestein_single_back_len350_dim1_sp_op_CI_CI.kd
    .uniform_work_group_size: 1
    .uses_dynamic_stack: false
    .vgpr_count:     104
    .vgpr_spill_count: 0
    .wavefront_size: 32
    .workgroup_processor_mode: 1
amdhsa.target:   amdgcn-amd-amdhsa--gfx1030
amdhsa.version:
  - 1
  - 2
...

	.end_amdgpu_metadata
